;; amdgpu-corpus repo=ROCm/rocFFT kind=compiled arch=gfx906 opt=O3
	.text
	.amdgcn_target "amdgcn-amd-amdhsa--gfx906"
	.amdhsa_code_object_version 6
	.protected	fft_rtc_back_len1936_factors_2_2_4_11_11_wgs_176_tpt_176_dp_op_CI_CI_sbrr_dirReg ; -- Begin function fft_rtc_back_len1936_factors_2_2_4_11_11_wgs_176_tpt_176_dp_op_CI_CI_sbrr_dirReg
	.globl	fft_rtc_back_len1936_factors_2_2_4_11_11_wgs_176_tpt_176_dp_op_CI_CI_sbrr_dirReg
	.p2align	8
	.type	fft_rtc_back_len1936_factors_2_2_4_11_11_wgs_176_tpt_176_dp_op_CI_CI_sbrr_dirReg,@function
fft_rtc_back_len1936_factors_2_2_4_11_11_wgs_176_tpt_176_dp_op_CI_CI_sbrr_dirReg: ; @fft_rtc_back_len1936_factors_2_2_4_11_11_wgs_176_tpt_176_dp_op_CI_CI_sbrr_dirReg
; %bb.0:
	s_load_dwordx4 s[16:19], s[4:5], 0x18
	s_load_dwordx4 s[12:15], s[4:5], 0x0
	;; [unrolled: 1-line block ×3, first 2 shown]
	v_mul_u32_u24_e32 v1, 0x175, v0
	v_add_u32_sdwa v6, s6, v1 dst_sel:DWORD dst_unused:UNUSED_PAD src0_sel:DWORD src1_sel:WORD_1
	s_waitcnt lgkmcnt(0)
	s_load_dwordx2 s[20:21], s[16:17], 0x0
	s_load_dwordx2 s[2:3], s[18:19], 0x0
	v_cmp_lt_u64_e64 s[0:1], s[14:15], 2
	v_mov_b32_e32 v1, 0
	v_mov_b32_e32 v4, 0
	;; [unrolled: 1-line block ×3, first 2 shown]
	s_and_b64 vcc, exec, s[0:1]
	v_mov_b32_e32 v5, 0
	s_cbranch_vccnz .LBB0_8
; %bb.1:
	s_load_dwordx2 s[0:1], s[4:5], 0x10
	s_add_u32 s6, s18, 8
	s_addc_u32 s7, s19, 0
	s_add_u32 s22, s16, 8
	v_mov_b32_e32 v4, 0
	s_addc_u32 s23, s17, 0
	v_mov_b32_e32 v5, 0
	s_waitcnt lgkmcnt(0)
	s_add_u32 s24, s0, 8
	v_mov_b32_e32 v61, v5
	s_addc_u32 s25, s1, 0
	s_mov_b64 s[26:27], 1
	v_mov_b32_e32 v60, v4
.LBB0_2:                                ; =>This Inner Loop Header: Depth=1
	s_load_dwordx2 s[28:29], s[24:25], 0x0
                                        ; implicit-def: $vgpr62_vgpr63
	s_waitcnt lgkmcnt(0)
	v_or_b32_e32 v2, s29, v7
	v_cmp_ne_u64_e32 vcc, 0, v[1:2]
	s_and_saveexec_b64 s[0:1], vcc
	s_xor_b64 s[30:31], exec, s[0:1]
	s_cbranch_execz .LBB0_4
; %bb.3:                                ;   in Loop: Header=BB0_2 Depth=1
	v_cvt_f32_u32_e32 v2, s28
	v_cvt_f32_u32_e32 v3, s29
	s_sub_u32 s0, 0, s28
	s_subb_u32 s1, 0, s29
	v_mac_f32_e32 v2, 0x4f800000, v3
	v_rcp_f32_e32 v2, v2
	v_mul_f32_e32 v2, 0x5f7ffffc, v2
	v_mul_f32_e32 v3, 0x2f800000, v2
	v_trunc_f32_e32 v3, v3
	v_mac_f32_e32 v2, 0xcf800000, v3
	v_cvt_u32_f32_e32 v3, v3
	v_cvt_u32_f32_e32 v2, v2
	v_mul_lo_u32 v8, s0, v3
	v_mul_hi_u32 v9, s0, v2
	v_mul_lo_u32 v11, s1, v2
	v_mul_lo_u32 v10, s0, v2
	v_add_u32_e32 v8, v9, v8
	v_add_u32_e32 v8, v8, v11
	v_mul_hi_u32 v9, v2, v10
	v_mul_lo_u32 v11, v2, v8
	v_mul_hi_u32 v13, v2, v8
	v_mul_hi_u32 v12, v3, v10
	v_mul_lo_u32 v10, v3, v10
	v_mul_hi_u32 v14, v3, v8
	v_add_co_u32_e32 v9, vcc, v9, v11
	v_addc_co_u32_e32 v11, vcc, 0, v13, vcc
	v_mul_lo_u32 v8, v3, v8
	v_add_co_u32_e32 v9, vcc, v9, v10
	v_addc_co_u32_e32 v9, vcc, v11, v12, vcc
	v_addc_co_u32_e32 v10, vcc, 0, v14, vcc
	v_add_co_u32_e32 v8, vcc, v9, v8
	v_addc_co_u32_e32 v9, vcc, 0, v10, vcc
	v_add_co_u32_e32 v2, vcc, v2, v8
	v_addc_co_u32_e32 v3, vcc, v3, v9, vcc
	v_mul_lo_u32 v8, s0, v3
	v_mul_hi_u32 v9, s0, v2
	v_mul_lo_u32 v10, s1, v2
	v_mul_lo_u32 v11, s0, v2
	v_add_u32_e32 v8, v9, v8
	v_add_u32_e32 v8, v8, v10
	v_mul_lo_u32 v12, v2, v8
	v_mul_hi_u32 v13, v2, v11
	v_mul_hi_u32 v14, v2, v8
	;; [unrolled: 1-line block ×3, first 2 shown]
	v_mul_lo_u32 v11, v3, v11
	v_mul_hi_u32 v9, v3, v8
	v_add_co_u32_e32 v12, vcc, v13, v12
	v_addc_co_u32_e32 v13, vcc, 0, v14, vcc
	v_mul_lo_u32 v8, v3, v8
	v_add_co_u32_e32 v11, vcc, v12, v11
	v_addc_co_u32_e32 v10, vcc, v13, v10, vcc
	v_addc_co_u32_e32 v9, vcc, 0, v9, vcc
	v_add_co_u32_e32 v8, vcc, v10, v8
	v_addc_co_u32_e32 v9, vcc, 0, v9, vcc
	v_add_co_u32_e32 v8, vcc, v2, v8
	v_addc_co_u32_e32 v9, vcc, v3, v9, vcc
	v_mad_u64_u32 v[2:3], s[0:1], v6, v9, 0
	v_mul_hi_u32 v10, v6, v8
	v_add_co_u32_e32 v10, vcc, v10, v2
	v_addc_co_u32_e32 v11, vcc, 0, v3, vcc
	v_mad_u64_u32 v[2:3], s[0:1], v7, v8, 0
	v_mad_u64_u32 v[8:9], s[0:1], v7, v9, 0
	v_add_co_u32_e32 v2, vcc, v10, v2
	v_addc_co_u32_e32 v2, vcc, v11, v3, vcc
	v_addc_co_u32_e32 v3, vcc, 0, v9, vcc
	v_add_co_u32_e32 v8, vcc, v2, v8
	v_addc_co_u32_e32 v9, vcc, 0, v3, vcc
	v_mul_lo_u32 v10, s29, v8
	v_mul_lo_u32 v11, s28, v9
	v_mad_u64_u32 v[2:3], s[0:1], s28, v8, 0
	v_add3_u32 v3, v3, v11, v10
	v_sub_u32_e32 v10, v7, v3
	v_mov_b32_e32 v11, s29
	v_sub_co_u32_e32 v2, vcc, v6, v2
	v_subb_co_u32_e64 v10, s[0:1], v10, v11, vcc
	v_subrev_co_u32_e64 v11, s[0:1], s28, v2
	v_subbrev_co_u32_e64 v10, s[0:1], 0, v10, s[0:1]
	v_cmp_le_u32_e64 s[0:1], s29, v10
	v_cndmask_b32_e64 v12, 0, -1, s[0:1]
	v_cmp_le_u32_e64 s[0:1], s28, v11
	v_cndmask_b32_e64 v11, 0, -1, s[0:1]
	v_cmp_eq_u32_e64 s[0:1], s29, v10
	v_cndmask_b32_e64 v10, v12, v11, s[0:1]
	v_add_co_u32_e64 v11, s[0:1], 2, v8
	v_addc_co_u32_e64 v12, s[0:1], 0, v9, s[0:1]
	v_add_co_u32_e64 v13, s[0:1], 1, v8
	v_addc_co_u32_e64 v14, s[0:1], 0, v9, s[0:1]
	v_subb_co_u32_e32 v3, vcc, v7, v3, vcc
	v_cmp_ne_u32_e64 s[0:1], 0, v10
	v_cmp_le_u32_e32 vcc, s29, v3
	v_cndmask_b32_e64 v10, v14, v12, s[0:1]
	v_cndmask_b32_e64 v12, 0, -1, vcc
	v_cmp_le_u32_e32 vcc, s28, v2
	v_cndmask_b32_e64 v2, 0, -1, vcc
	v_cmp_eq_u32_e32 vcc, s29, v3
	v_cndmask_b32_e32 v2, v12, v2, vcc
	v_cmp_ne_u32_e32 vcc, 0, v2
	v_cndmask_b32_e64 v2, v13, v11, s[0:1]
	v_cndmask_b32_e32 v63, v9, v10, vcc
	v_cndmask_b32_e32 v62, v8, v2, vcc
.LBB0_4:                                ;   in Loop: Header=BB0_2 Depth=1
	s_andn2_saveexec_b64 s[0:1], s[30:31]
	s_cbranch_execz .LBB0_6
; %bb.5:                                ;   in Loop: Header=BB0_2 Depth=1
	v_cvt_f32_u32_e32 v2, s28
	s_sub_i32 s30, 0, s28
	v_mov_b32_e32 v63, v1
	v_rcp_iflag_f32_e32 v2, v2
	v_mul_f32_e32 v2, 0x4f7ffffe, v2
	v_cvt_u32_f32_e32 v2, v2
	v_mul_lo_u32 v3, s30, v2
	v_mul_hi_u32 v3, v2, v3
	v_add_u32_e32 v2, v2, v3
	v_mul_hi_u32 v2, v6, v2
	v_mul_lo_u32 v3, v2, s28
	v_add_u32_e32 v8, 1, v2
	v_sub_u32_e32 v3, v6, v3
	v_subrev_u32_e32 v9, s28, v3
	v_cmp_le_u32_e32 vcc, s28, v3
	v_cndmask_b32_e32 v3, v3, v9, vcc
	v_cndmask_b32_e32 v2, v2, v8, vcc
	v_add_u32_e32 v8, 1, v2
	v_cmp_le_u32_e32 vcc, s28, v3
	v_cndmask_b32_e32 v62, v2, v8, vcc
.LBB0_6:                                ;   in Loop: Header=BB0_2 Depth=1
	s_or_b64 exec, exec, s[0:1]
	v_mul_lo_u32 v8, v63, s28
	v_mul_lo_u32 v9, v62, s29
	v_mad_u64_u32 v[2:3], s[0:1], v62, s28, 0
	s_load_dwordx2 s[0:1], s[22:23], 0x0
	s_load_dwordx2 s[28:29], s[6:7], 0x0
	v_add3_u32 v3, v3, v9, v8
	v_sub_co_u32_e32 v2, vcc, v6, v2
	v_subb_co_u32_e32 v3, vcc, v7, v3, vcc
	s_waitcnt lgkmcnt(0)
	v_mul_lo_u32 v6, s0, v3
	v_mul_lo_u32 v7, s1, v2
	v_mad_u64_u32 v[4:5], s[0:1], s0, v2, v[4:5]
	v_mul_lo_u32 v3, s28, v3
	v_mul_lo_u32 v8, s29, v2
	v_mad_u64_u32 v[60:61], s[0:1], s28, v2, v[60:61]
	s_add_u32 s26, s26, 1
	s_addc_u32 s27, s27, 0
	s_add_u32 s6, s6, 8
	v_add3_u32 v61, v8, v61, v3
	s_addc_u32 s7, s7, 0
	v_mov_b32_e32 v2, s14
	s_add_u32 s22, s22, 8
	v_mov_b32_e32 v3, s15
	s_addc_u32 s23, s23, 0
	v_cmp_ge_u64_e32 vcc, s[26:27], v[2:3]
	s_add_u32 s24, s24, 8
	v_add3_u32 v5, v7, v5, v6
	s_addc_u32 s25, s25, 0
	s_cbranch_vccnz .LBB0_9
; %bb.7:                                ;   in Loop: Header=BB0_2 Depth=1
	v_mov_b32_e32 v6, v62
	v_mov_b32_e32 v7, v63
	s_branch .LBB0_2
.LBB0_8:
	v_mov_b32_e32 v61, v5
	v_mov_b32_e32 v63, v7
	;; [unrolled: 1-line block ×4, first 2 shown]
.LBB0_9:
	s_load_dwordx2 s[0:1], s[4:5], 0x28
	s_lshl_b64 s[14:15], s[14:15], 3
	s_add_u32 s4, s18, s14
	s_addc_u32 s5, s19, s15
                                        ; implicit-def: $sgpr18
                                        ; implicit-def: $vgpr64
                                        ; implicit-def: $vgpr69
                                        ; implicit-def: $vgpr68
                                        ; implicit-def: $vgpr50
                                        ; implicit-def: $vgpr51
	s_waitcnt lgkmcnt(0)
	v_cmp_gt_u64_e32 vcc, s[0:1], v[62:63]
	v_cmp_le_u64_e64 s[0:1], s[0:1], v[62:63]
	s_and_saveexec_b64 s[6:7], s[0:1]
	s_xor_b64 s[0:1], exec, s[6:7]
; %bb.10:
	s_mov_b32 s6, 0x1745d18
	v_mul_hi_u32 v1, v0, s6
	s_mov_b32 s18, 0
                                        ; implicit-def: $vgpr4_vgpr5
	v_mul_u32_u24_e32 v1, 0xb0, v1
	v_sub_u32_e32 v64, v0, v1
	v_add_u32_e32 v69, 0xb0, v64
	v_add_u32_e32 v68, 0x160, v64
	;; [unrolled: 1-line block ×4, first 2 shown]
                                        ; implicit-def: $vgpr0
; %bb.11:
	s_or_saveexec_b64 s[6:7], s[0:1]
	s_load_dwordx2 s[4:5], s[4:5], 0x0
	v_mov_b32_e32 v104, s18
                                        ; implicit-def: $vgpr34_vgpr35
                                        ; implicit-def: $vgpr26_vgpr27
                                        ; implicit-def: $vgpr30_vgpr31
                                        ; implicit-def: $vgpr6_vgpr7
                                        ; implicit-def: $vgpr2_vgpr3
                                        ; implicit-def: $vgpr38_vgpr39
                                        ; implicit-def: $vgpr46_vgpr47
                                        ; implicit-def: $vgpr10_vgpr11
                                        ; implicit-def: $vgpr22_vgpr23
                                        ; implicit-def: $vgpr14_vgpr15
                                        ; implicit-def: $vgpr42_vgpr43
                                        ; implicit-def: $vgpr18_vgpr19
	s_xor_b64 exec, exec, s[6:7]
	s_cbranch_execz .LBB0_15
; %bb.12:
	s_add_u32 s0, s16, s14
	s_mov_b32 s14, 0x1745d18
	s_addc_u32 s1, s17, s15
	v_mul_hi_u32 v1, v0, s14
	s_load_dwordx2 s[0:1], s[0:1], 0x0
	v_mul_u32_u24_e32 v1, 0xb0, v1
	v_sub_u32_e32 v64, v0, v1
	s_waitcnt lgkmcnt(0)
	v_mul_lo_u32 v8, s1, v62
	v_mad_u64_u32 v[0:1], s[14:15], s20, v64, 0
	v_mul_lo_u32 v9, s0, v63
	v_mad_u64_u32 v[2:3], s[0:1], s0, v62, 0
	v_add_u32_e32 v69, 0xb0, v64
	v_add_u32_e32 v10, 0x478, v64
	v_mad_u64_u32 v[6:7], s[0:1], s21, v64, v[1:2]
	v_add3_u32 v3, v3, v9, v8
	v_lshlrev_b64 v[2:3], 4, v[2:3]
	v_mov_b32_e32 v1, v6
	v_mov_b32_e32 v6, s9
	v_add_co_u32_e64 v7, s[0:1], s8, v2
	v_add_u32_e32 v8, 0x3c8, v64
	v_addc_co_u32_e64 v6, s[0:1], v6, v3, s[0:1]
	v_lshlrev_b64 v[2:3], 4, v[4:5]
	v_mad_u64_u32 v[4:5], s[0:1], s20, v8, 0
	v_add_co_u32_e64 v38, s[0:1], v7, v2
	v_mov_b32_e32 v2, v5
	v_addc_co_u32_e64 v39, s[0:1], v6, v3, s[0:1]
	v_mad_u64_u32 v[2:3], s[0:1], s21, v8, v[2:3]
	v_mad_u64_u32 v[6:7], s[0:1], s20, v69, 0
	v_lshlrev_b64 v[0:1], 4, v[0:1]
	v_mov_b32_e32 v5, v2
	v_add_co_u32_e64 v0, s[0:1], v38, v0
	v_lshlrev_b64 v[2:3], 4, v[4:5]
	v_mov_b32_e32 v4, v7
	v_addc_co_u32_e64 v1, s[0:1], v39, v1, s[0:1]
	v_mad_u64_u32 v[4:5], s[0:1], s21, v69, v[4:5]
	v_mad_u64_u32 v[8:9], s[0:1], s20, v10, 0
	v_mov_b32_e32 v7, v4
	v_add_co_u32_e64 v2, s[0:1], v38, v2
	v_lshlrev_b64 v[4:5], 4, v[6:7]
	v_mov_b32_e32 v6, v9
	v_add_u32_e32 v68, 0x160, v64
	v_addc_co_u32_e64 v3, s[0:1], v39, v3, s[0:1]
	v_mad_u64_u32 v[6:7], s[0:1], s21, v10, v[6:7]
	v_mad_u64_u32 v[10:11], s[0:1], s20, v68, 0
	v_add_co_u32_e64 v36, s[0:1], v38, v4
	v_mov_b32_e32 v9, v6
	v_mov_b32_e32 v6, v11
	v_addc_co_u32_e64 v37, s[0:1], v39, v5, s[0:1]
	v_lshlrev_b64 v[4:5], 4, v[8:9]
	v_mad_u64_u32 v[6:7], s[0:1], s21, v68, v[6:7]
	v_add_u32_e32 v9, 0x528, v64
	v_mad_u64_u32 v[7:8], s[0:1], s20, v9, 0
	v_add_co_u32_e64 v44, s[0:1], v38, v4
	v_mov_b32_e32 v11, v6
	v_mov_b32_e32 v6, v8
	v_addc_co_u32_e64 v45, s[0:1], v39, v5, s[0:1]
	v_mad_u64_u32 v[8:9], s[0:1], s21, v9, v[6:7]
	v_add_u32_e32 v50, 0x210, v64
	v_lshlrev_b64 v[4:5], 4, v[10:11]
	v_mad_u64_u32 v[9:10], s[0:1], s20, v50, 0
	v_add_co_u32_e64 v46, s[0:1], v38, v4
	v_mov_b32_e32 v6, v10
	v_addc_co_u32_e64 v47, s[0:1], v39, v5, s[0:1]
	v_lshlrev_b64 v[4:5], 4, v[7:8]
	v_mad_u64_u32 v[6:7], s[0:1], s21, v50, v[6:7]
	v_add_u32_e32 v11, 0x5d8, v64
	v_mad_u64_u32 v[7:8], s[0:1], s20, v11, 0
	v_add_co_u32_e64 v48, s[0:1], v38, v4
	v_mov_b32_e32 v10, v6
	v_mov_b32_e32 v6, v8
	v_addc_co_u32_e64 v49, s[0:1], v39, v5, s[0:1]
	v_lshlrev_b64 v[4:5], 4, v[9:10]
	v_mad_u64_u32 v[8:9], s[0:1], s21, v11, v[6:7]
	v_add_u32_e32 v51, 0x2c0, v64
	v_mad_u64_u32 v[9:10], s[0:1], s20, v51, 0
	v_add_co_u32_e64 v52, s[0:1], v38, v4
	v_mov_b32_e32 v6, v10
	v_addc_co_u32_e64 v53, s[0:1], v39, v5, s[0:1]
	v_lshlrev_b64 v[4:5], 4, v[7:8]
	v_mad_u64_u32 v[6:7], s[0:1], s21, v51, v[6:7]
	v_add_u32_e32 v11, 0x688, v64
	v_mad_u64_u32 v[7:8], s[0:1], s20, v11, 0
	v_add_co_u32_e64 v54, s[0:1], v38, v4
	v_mov_b32_e32 v10, v6
	v_mov_b32_e32 v6, v8
	v_addc_co_u32_e64 v55, s[0:1], v39, v5, s[0:1]
	v_lshlrev_b64 v[4:5], 4, v[9:10]
	v_mad_u64_u32 v[8:9], s[0:1], s21, v11, v[6:7]
	v_add_co_u32_e64 v56, s[0:1], v38, v4
	global_load_dwordx4 v[16:19], v[0:1], off
	global_load_dwordx4 v[32:35], v[2:3], off
	v_lshlrev_b64 v[0:1], 4, v[7:8]
	v_addc_co_u32_e64 v57, s[0:1], v39, v5, s[0:1]
	v_add_co_u32_e64 v58, s[0:1], v38, v0
	v_addc_co_u32_e64 v59, s[0:1], v39, v1, s[0:1]
	global_load_dwordx4 v[24:27], v[36:37], off
	global_load_dwordx4 v[40:43], v[44:45], off
	;; [unrolled: 1-line block ×8, first 2 shown]
	s_movk_i32 s0, 0x58
	v_cmp_gt_u32_e64 s[0:1], s0, v64
                                        ; implicit-def: $vgpr44_vgpr45
                                        ; implicit-def: $vgpr36_vgpr37
	s_and_saveexec_b64 s[8:9], s[0:1]
	s_cbranch_execz .LBB0_14
; %bb.13:
	v_add_u32_e32 v46, 0x370, v64
	v_mad_u64_u32 v[36:37], s[0:1], s20, v46, 0
	v_add_u32_e32 v48, 0x738, v64
	v_mad_u64_u32 v[44:45], s[0:1], s20, v48, 0
	v_mad_u64_u32 v[46:47], s[0:1], s21, v46, v[37:38]
	v_mov_b32_e32 v37, v46
	v_mad_u64_u32 v[45:46], s[0:1], s21, v48, v[45:46]
	v_lshlrev_b64 v[36:37], 4, v[36:37]
	v_add_co_u32_e64 v48, s[0:1], v38, v36
	v_addc_co_u32_e64 v49, s[0:1], v39, v37, s[0:1]
	v_lshlrev_b64 v[36:37], 4, v[44:45]
	v_add_co_u32_e64 v52, s[0:1], v38, v36
	v_addc_co_u32_e64 v53, s[0:1], v39, v37, s[0:1]
	global_load_dwordx4 v[36:39], v[48:49], off
	global_load_dwordx4 v[44:47], v[52:53], off
.LBB0_14:
	s_or_b64 exec, exec, s[8:9]
	v_mov_b32_e32 v104, v64
.LBB0_15:
	s_or_b64 exec, exec, s[6:7]
	s_waitcnt vmcnt(8)
	v_add_f64 v[32:33], v[16:17], -v[32:33]
	v_add_f64 v[34:35], v[18:19], -v[34:35]
	s_waitcnt vmcnt(6)
	v_add_f64 v[40:41], v[24:25], -v[40:41]
	v_add_f64 v[42:43], v[26:27], -v[42:43]
	;; [unrolled: 3-line block ×5, first 2 shown]
	v_add_f64 v[0:1], v[36:37], -v[44:45]
	v_add_f64 v[2:3], v[38:39], -v[46:47]
	v_fma_f64 v[16:17], v[16:17], 2.0, -v[32:33]
	v_fma_f64 v[18:19], v[18:19], 2.0, -v[34:35]
	;; [unrolled: 1-line block ×12, first 2 shown]
	s_movk_i32 s0, 0x58
	v_lshl_add_u32 v59, v64, 5, 0
	v_lshl_add_u32 v48, v69, 5, 0
	;; [unrolled: 1-line block ×5, first 2 shown]
	v_add_u32_e32 v49, 0x370, v64
	v_cmp_gt_u32_e64 s[0:1], s0, v64
	ds_write_b128 v59, v[16:19]
	ds_write_b128 v59, v[32:35] offset:16
	ds_write_b128 v48, v[24:27]
	ds_write_b128 v48, v[40:43] offset:16
	;; [unrolled: 2-line block ×5, first 2 shown]
	s_and_saveexec_b64 s[6:7], s[0:1]
	s_cbranch_execz .LBB0_17
; %bb.16:
	v_lshl_add_u32 v4, v49, 5, 0
	ds_write_b128 v4, v[12:15]
	ds_write_b128 v4, v[0:3] offset:16
.LBB0_17:
	s_or_b64 exec, exec, s[6:7]
	v_lshlrev_b32_e32 v65, 4, v64
	v_lshlrev_b32_e32 v57, 4, v69
	;; [unrolled: 1-line block ×5, first 2 shown]
	v_sub_u32_e32 v40, v59, v65
	v_sub_u32_e32 v8, v48, v57
	v_sub_u32_e32 v9, v67, v58
	v_sub_u32_e32 v28, v70, v72
	v_sub_u32_e32 v29, v71, v74
	s_waitcnt lgkmcnt(0)
	s_barrier
	ds_read_b128 v[16:19], v40
	ds_read_b128 v[4:7], v40 offset:15488
	ds_read_b128 v[24:27], v8
	ds_read_b128 v[20:23], v9
	ds_read_b128 v[36:39], v40 offset:18304
	ds_read_b128 v[8:11], v40 offset:21120
	ds_read_b128 v[32:35], v28
	ds_read_b128 v[28:31], v29
	ds_read_b128 v[44:47], v40 offset:23936
	ds_read_b128 v[40:43], v40 offset:26752
	v_lshlrev_b32_e32 v56, 1, v50
	v_sub_u32_e32 v50, 0, v65
	v_lshlrev_b32_e32 v53, 1, v64
	v_lshlrev_b32_e32 v54, 1, v69
	;; [unrolled: 1-line block ×4, first 2 shown]
	v_add_u32_e32 v65, v59, v50
	s_and_saveexec_b64 s[6:7], s[0:1]
	s_cbranch_execz .LBB0_19
; %bb.18:
	ds_read_b128 v[12:15], v65 offset:14080
	ds_read_b128 v[0:3], v65 offset:29568
.LBB0_19:
	s_or_b64 exec, exec, s[6:7]
	v_and_b32_e32 v51, 1, v64
	v_lshlrev_b32_e32 v50, 4, v51
	global_load_dwordx4 v[75:78], v50, s[12:13]
	s_movk_i32 s6, 0x1fc
	s_movk_i32 s7, 0x3fc
	;; [unrolled: 1-line block ×3, first 2 shown]
	v_and_or_b32 v53, v53, s6, v51
	v_and_or_b32 v54, v54, s7, v51
	;; [unrolled: 1-line block ×5, first 2 shown]
	v_sub_u32_e32 v50, 0, v57
	v_sub_u32_e32 v73, 0, v58
	v_lshl_add_u32 v66, v53, 4, 0
	v_lshl_add_u32 v93, v54, 4, 0
	;; [unrolled: 1-line block ×5, first 2 shown]
	s_waitcnt vmcnt(0) lgkmcnt(0)
	s_barrier
	v_mul_f64 v[52:53], v[6:7], v[77:78]
	v_mul_f64 v[54:55], v[4:5], v[77:78]
	;; [unrolled: 1-line block ×12, first 2 shown]
	v_fma_f64 v[4:5], v[4:5], v[75:76], v[52:53]
	v_fma_f64 v[6:7], v[6:7], v[75:76], -v[54:55]
	v_fma_f64 v[8:9], v[8:9], v[75:76], v[79:80]
	v_fma_f64 v[10:11], v[10:11], v[75:76], -v[81:82]
	v_fma_f64 v[79:80], v[40:41], v[75:76], v[87:88]
	v_fma_f64 v[81:82], v[42:43], v[75:76], -v[89:90]
	v_fma_f64 v[0:1], v[0:1], v[75:76], v[91:92]
	v_fma_f64 v[2:3], v[2:3], v[75:76], -v[77:78]
	v_fma_f64 v[52:53], v[36:37], v[75:76], v[56:57]
	v_fma_f64 v[54:55], v[38:39], v[75:76], -v[58:59]
	v_fma_f64 v[56:57], v[44:45], v[75:76], v[83:84]
	v_fma_f64 v[58:59], v[46:47], v[75:76], -v[85:86]
	v_add_f64 v[36:37], v[16:17], -v[4:5]
	v_add_f64 v[38:39], v[18:19], -v[6:7]
	v_add_f64 v[44:45], v[20:21], -v[8:9]
	v_add_f64 v[46:47], v[22:23], -v[10:11]
	v_add_f64 v[4:5], v[28:29], -v[79:80]
	v_add_f64 v[6:7], v[30:31], -v[81:82]
	v_add_f64 v[8:9], v[12:13], -v[0:1]
	v_add_f64 v[10:11], v[14:15], -v[2:3]
	v_add_f64 v[40:41], v[24:25], -v[52:53]
	v_add_f64 v[42:43], v[26:27], -v[54:55]
	v_add_f64 v[52:53], v[32:33], -v[56:57]
	v_add_f64 v[54:55], v[34:35], -v[58:59]
	v_fma_f64 v[0:1], v[28:29], 2.0, -v[4:5]
	v_fma_f64 v[2:3], v[30:31], 2.0, -v[6:7]
	;; [unrolled: 1-line block ×12, first 2 shown]
	ds_write_b128 v66, v[36:39] offset:32
	ds_write_b128 v66, v[16:19]
	ds_write_b128 v93, v[24:27]
	ds_write_b128 v93, v[40:43] offset:32
	ds_write_b128 v94, v[20:23]
	ds_write_b128 v94, v[44:47] offset:32
	;; [unrolled: 2-line block ×4, first 2 shown]
	s_and_saveexec_b64 s[6:7], s[0:1]
	s_cbranch_execz .LBB0_21
; %bb.20:
	v_lshlrev_b32_e32 v16, 1, v49
	v_and_or_b32 v16, v16, s8, v51
	v_lshl_add_u32 v16, v16, 4, 0
	ds_write_b128 v16, v[12:15]
	ds_write_b128 v16, v[8:11] offset:32
.LBB0_21:
	s_or_b64 exec, exec, s[6:7]
	s_waitcnt lgkmcnt(0)
	s_barrier
	v_add_u32_e32 v66, v48, v50
	ds_read_b128 v[32:35], v65
	ds_read_b128 v[28:31], v66
	ds_read_b128 v[56:59], v65 offset:7744
	ds_read_b128 v[44:47], v65 offset:10560
	;; [unrolled: 1-line block ×6, first 2 shown]
	s_movk_i32 s0, 0x84
	v_cmp_gt_u32_e64 s[0:1], s0, v64
	v_add_u32_e32 v67, v67, v73
	s_and_saveexec_b64 s[6:7], s[0:1]
	s_cbranch_execz .LBB0_23
; %bb.22:
	ds_read_b128 v[0:3], v67
	ds_read_b128 v[4:7], v65 offset:13376
	ds_read_b128 v[12:15], v65 offset:21120
	;; [unrolled: 1-line block ×3, first 2 shown]
.LBB0_23:
	s_or_b64 exec, exec, s[6:7]
	v_sub_u32_e32 v73, 0, v72
	v_sub_u32_e32 v72, 0, v74
	v_and_b32_e32 v74, 3, v64
	v_mul_u32_u24_e32 v16, 3, v74
	v_lshlrev_b32_e32 v75, 4, v16
	global_load_dwordx4 v[16:19], v75, s[12:13] offset:64
	global_load_dwordx4 v[20:23], v75, s[12:13] offset:48
	;; [unrolled: 1-line block ×3, first 2 shown]
	s_movk_i32 s6, 0x3f0
	s_waitcnt vmcnt(0) lgkmcnt(0)
	s_barrier
	v_mul_f64 v[75:76], v[58:59], v[26:27]
	v_fma_f64 v[75:76], v[56:57], v[24:25], v[75:76]
	v_mul_f64 v[56:57], v[56:57], v[26:27]
	v_fma_f64 v[56:57], v[58:59], v[24:25], -v[56:57]
	v_mul_f64 v[58:59], v[54:55], v[22:23]
	v_fma_f64 v[58:59], v[52:53], v[20:21], v[58:59]
	v_mul_f64 v[52:53], v[52:53], v[22:23]
	v_fma_f64 v[52:53], v[54:55], v[20:21], -v[52:53]
	;; [unrolled: 4-line block ×4, first 2 shown]
	v_mul_f64 v[44:45], v[42:43], v[22:23]
	v_add_f64 v[46:47], v[34:35], -v[52:53]
	v_fma_f64 v[79:80], v[40:41], v[20:21], v[44:45]
	v_mul_f64 v[40:41], v[40:41], v[22:23]
	v_add_f64 v[44:45], v[32:33], -v[58:59]
	v_fma_f64 v[81:82], v[42:43], v[20:21], -v[40:41]
	v_mul_f64 v[40:41], v[38:39], v[18:19]
	v_add_f64 v[42:43], v[75:76], -v[54:55]
	v_add_f64 v[58:59], v[30:31], -v[81:82]
	v_fma_f64 v[83:84], v[36:37], v[16:17], v[40:41]
	v_mul_f64 v[36:37], v[36:37], v[18:19]
	v_add_f64 v[40:41], v[56:57], -v[48:49]
	v_fma_f64 v[52:53], v[30:31], 2.0, -v[58:59]
	v_add_f64 v[54:55], v[50:51], -v[83:84]
	v_fma_f64 v[85:86], v[38:39], v[16:17], -v[36:37]
	v_fma_f64 v[36:37], v[32:33], 2.0, -v[44:45]
	v_fma_f64 v[32:33], v[75:76], 2.0, -v[42:43]
	;; [unrolled: 1-line block ×4, first 2 shown]
	v_add_f64 v[56:57], v[28:29], -v[79:80]
	v_add_f64 v[40:41], v[44:45], v[40:41]
	v_add_f64 v[42:43], v[46:47], -v[42:43]
	v_add_f64 v[75:76], v[77:78], -v[85:86]
	;; [unrolled: 1-line block ×4, first 2 shown]
	v_fma_f64 v[48:49], v[28:29], 2.0, -v[56:57]
	v_fma_f64 v[28:29], v[50:51], 2.0, -v[54:55]
	v_add_f64 v[54:55], v[58:59], -v[54:55]
	v_fma_f64 v[30:31], v[77:78], 2.0, -v[75:76]
	v_fma_f64 v[44:45], v[44:45], 2.0, -v[40:41]
	;; [unrolled: 1-line block ×5, first 2 shown]
	v_add_f64 v[28:29], v[48:49], -v[28:29]
	v_fma_f64 v[58:59], v[58:59], 2.0, -v[54:55]
	v_add_f64 v[30:31], v[52:53], -v[30:31]
	v_fma_f64 v[48:49], v[48:49], 2.0, -v[28:29]
	v_fma_f64 v[50:51], v[52:53], 2.0, -v[30:31]
	v_add_f64 v[52:53], v[56:57], v[75:76]
	v_lshlrev_b32_e32 v75, 2, v64
	v_and_or_b32 v75, v75, s6, v74
	v_lshl_add_u32 v75, v75, 4, 0
	ds_write_b128 v75, v[36:39]
	ds_write_b128 v75, v[44:47] offset:64
	ds_write_b128 v75, v[32:35] offset:128
	;; [unrolled: 1-line block ×3, first 2 shown]
	v_lshlrev_b32_e32 v32, 2, v69
	s_movk_i32 s6, 0x7f0
	v_and_or_b32 v32, v32, s6, v74
	v_fma_f64 v[56:57], v[56:57], 2.0, -v[52:53]
	v_lshl_add_u32 v32, v32, 4, 0
	ds_write_b128 v32, v[48:51]
	ds_write_b128 v32, v[56:59] offset:64
	ds_write_b128 v32, v[28:31] offset:128
	;; [unrolled: 1-line block ×3, first 2 shown]
	s_and_saveexec_b64 s[6:7], s[0:1]
	s_cbranch_execz .LBB0_25
; %bb.24:
	v_mul_f64 v[28:29], v[12:13], v[22:23]
	v_mul_f64 v[30:31], v[6:7], v[26:27]
	;; [unrolled: 1-line block ×6, first 2 shown]
	s_movk_i32 s0, 0xff0
	v_fma_f64 v[14:15], v[14:15], v[20:21], -v[28:29]
	v_fma_f64 v[4:5], v[4:5], v[24:25], v[30:31]
	v_fma_f64 v[6:7], v[6:7], v[24:25], -v[26:27]
	v_fma_f64 v[10:11], v[10:11], v[16:17], -v[32:33]
	v_fma_f64 v[12:13], v[12:13], v[20:21], v[22:23]
	v_fma_f64 v[8:9], v[8:9], v[16:17], v[18:19]
	v_add_f64 v[14:15], v[2:3], -v[14:15]
	v_add_f64 v[10:11], v[6:7], -v[10:11]
	v_add_f64 v[12:13], v[0:1], -v[12:13]
	v_add_f64 v[8:9], v[4:5], -v[8:9]
	v_fma_f64 v[16:17], v[2:3], 2.0, -v[14:15]
	v_fma_f64 v[6:7], v[6:7], 2.0, -v[10:11]
	;; [unrolled: 1-line block ×4, first 2 shown]
	v_add_f64 v[2:3], v[14:15], -v[8:9]
	v_add_f64 v[0:1], v[12:13], v[10:11]
	v_add_f64 v[6:7], v[16:17], -v[6:7]
	v_add_f64 v[4:5], v[18:19], -v[4:5]
	v_fma_f64 v[10:11], v[14:15], 2.0, -v[2:3]
	v_fma_f64 v[8:9], v[12:13], 2.0, -v[0:1]
	;; [unrolled: 1-line block ×3, first 2 shown]
	v_lshlrev_b32_e32 v16, 2, v68
	v_fma_f64 v[12:13], v[18:19], 2.0, -v[4:5]
	v_and_or_b32 v16, v16, s0, v74
	v_lshl_add_u32 v16, v16, 4, 0
	ds_write_b128 v16, v[8:11] offset:64
	ds_write_b128 v16, v[4:7] offset:128
	ds_write_b128 v16, v[12:15]
	ds_write_b128 v16, v[0:3] offset:192
.LBB0_25:
	s_or_b64 exec, exec, s[6:7]
	v_and_b32_e32 v3, 15, v64
	v_mul_u32_u24_e32 v0, 10, v3
	v_lshlrev_b32_e32 v0, 4, v0
	s_waitcnt lgkmcnt(0)
	s_barrier
	global_load_dwordx4 v[4:7], v0, s[12:13] offset:224
	global_load_dwordx4 v[8:11], v0, s[12:13] offset:240
	;; [unrolled: 1-line block ×10, first 2 shown]
	ds_read_b128 v[44:47], v65
	ds_read_b128 v[48:51], v67
	v_add_u32_e32 v0, v70, v73
	v_lshl_add_u32 v2, v64, 4, 0
	v_add_u32_e32 v1, v71, v72
	ds_read_b128 v[52:55], v65 offset:16896
	ds_read_b128 v[56:59], v65 offset:19712
	;; [unrolled: 1-line block ×5, first 2 shown]
	ds_read_b128 v[80:83], v66
	ds_read_b128 v[84:87], v2 offset:14080
	ds_read_b128 v[88:91], v0
	ds_read_b128 v[92:95], v1
	s_mov_b32 s6, 0xf8bb580b
	s_mov_b32 s0, 0x8764f0ba
	;; [unrolled: 1-line block ×30, first 2 shown]
	s_waitcnt vmcnt(0) lgkmcnt(0)
	s_barrier
	v_mul_f64 v[96:97], v[82:83], v[6:7]
	v_mul_f64 v[6:7], v[80:81], v[6:7]
	;; [unrolled: 1-line block ×18, first 2 shown]
	v_fma_f64 v[80:81], v[80:81], v[4:5], v[96:97]
	v_fma_f64 v[4:5], v[82:83], v[4:5], -v[6:7]
	v_fma_f64 v[6:7], v[48:49], v[8:9], v[98:99]
	v_fma_f64 v[8:9], v[50:51], v[8:9], -v[10:11]
	v_fma_f64 v[10:11], v[88:89], v[12:13], v[100:101]
	v_fma_f64 v[12:13], v[90:91], v[12:13], -v[14:15]
	v_fma_f64 v[14:15], v[92:93], v[16:17], v[102:103]
	v_fma_f64 v[16:17], v[94:95], v[16:17], -v[18:19]
	v_fma_f64 v[18:19], v[84:85], v[20:21], v[105:106]
	v_fma_f64 v[20:21], v[86:87], v[20:21], -v[22:23]
	v_fma_f64 v[22:23], v[52:53], v[24:25], v[107:108]
	v_fma_f64 v[24:25], v[54:55], v[24:25], -v[26:27]
	v_fma_f64 v[26:27], v[56:57], v[28:29], v[109:110]
	v_fma_f64 v[28:29], v[58:59], v[28:29], -v[30:31]
	v_fma_f64 v[30:31], v[78:79], v[32:33], -v[111:112]
	v_fma_f64 v[48:49], v[68:69], v[36:37], v[113:114]
	v_fma_f64 v[32:33], v[76:77], v[32:33], v[34:35]
	v_fma_f64 v[34:35], v[70:71], v[36:37], -v[38:39]
	v_add_f64 v[36:37], v[44:45], v[80:81]
	v_add_f64 v[38:39], v[46:47], v[4:5]
	v_mul_f64 v[115:116], v[74:75], v[42:43]
	v_mul_f64 v[42:43], v[72:73], v[42:43]
	v_add_f64 v[50:51], v[4:5], -v[30:31]
	v_add_f64 v[4:5], v[4:5], v[30:31]
	v_add_f64 v[52:53], v[80:81], v[32:33]
	v_add_f64 v[54:55], v[80:81], -v[32:33]
	v_add_f64 v[36:37], v[36:37], v[6:7]
	v_add_f64 v[38:39], v[38:39], v[8:9]
	v_fma_f64 v[42:43], v[74:75], v[40:41], -v[42:43]
	v_fma_f64 v[40:41], v[72:73], v[40:41], v[115:116]
	v_mul_f64 v[70:71], v[4:5], s[0:1]
	v_mul_f64 v[72:73], v[50:51], s[14:15]
	;; [unrolled: 1-line block ×3, first 2 shown]
	v_add_f64 v[36:37], v[36:37], v[10:11]
	v_add_f64 v[38:39], v[38:39], v[12:13]
	v_mul_f64 v[76:77], v[50:51], s[18:19]
	v_mul_f64 v[78:79], v[4:5], s[16:17]
	v_add_f64 v[58:59], v[6:7], v[40:41]
	v_add_f64 v[68:69], v[6:7], -v[40:41]
	v_mul_f64 v[6:7], v[50:51], s[6:7]
	v_mul_f64 v[80:81], v[50:51], s[26:27]
	v_add_f64 v[36:37], v[36:37], v[14:15]
	v_add_f64 v[38:39], v[38:39], v[16:17]
	v_mul_f64 v[50:51], v[50:51], s[28:29]
	v_mul_f64 v[82:83], v[4:5], s[20:21]
	;; [unrolled: 1-line block ×3, first 2 shown]
	v_fma_f64 v[86:87], v[52:53], s[8:9], v[72:73]
	v_fma_f64 v[84:85], v[52:53], s[0:1], v[6:7]
	v_fma_f64 v[6:7], v[52:53], s[0:1], -v[6:7]
	v_add_f64 v[36:37], v[36:37], v[18:19]
	v_add_f64 v[38:39], v[38:39], v[20:21]
	v_fma_f64 v[72:73], v[52:53], s[8:9], -v[72:73]
	v_fma_f64 v[88:89], v[52:53], s[16:17], v[76:77]
	v_fma_f64 v[76:77], v[52:53], s[16:17], -v[76:77]
	v_fma_f64 v[90:91], v[52:53], s[20:21], v[80:81]
	;; [unrolled: 2-line block ×3, first 2 shown]
	v_add_f64 v[36:37], v[36:37], v[22:23]
	v_add_f64 v[38:39], v[38:39], v[24:25]
	v_fma_f64 v[50:51], v[52:53], s[24:25], -v[50:51]
	v_fma_f64 v[52:53], v[54:55], s[22:23], v[70:71]
	v_fma_f64 v[70:71], v[54:55], s[6:7], v[70:71]
	;; [unrolled: 1-line block ×5, first 2 shown]
	v_add_f64 v[36:37], v[36:37], v[26:27]
	v_add_f64 v[38:39], v[38:39], v[28:29]
	v_fma_f64 v[78:79], v[54:55], s[18:19], v[78:79]
	v_fma_f64 v[98:99], v[54:55], s[38:39], v[82:83]
	v_fma_f64 v[82:83], v[54:55], s[26:27], v[82:83]
	v_fma_f64 v[100:101], v[54:55], s[34:35], v[4:5]
	v_fma_f64 v[54:55], v[54:55], s[28:29], v[4:5]
	v_add_f64 v[56:57], v[8:9], -v[42:43]
	v_add_f64 v[4:5], v[36:37], v[48:49]
	v_add_f64 v[36:37], v[38:39], v[34:35]
	;; [unrolled: 1-line block ×18, first 2 shown]
	v_mul_f64 v[30:31], v[56:57], s[14:15]
	v_mul_f64 v[32:33], v[8:9], s[8:9]
	v_add_f64 v[90:91], v[44:45], v[92:93]
	v_add_f64 v[92:93], v[46:47], v[100:101]
	v_mul_f64 v[96:97], v[56:57], s[26:27]
	v_mul_f64 v[98:99], v[8:9], s[20:21]
	v_add_f64 v[94:95], v[46:47], v[94:95]
	v_add_f64 v[72:73], v[44:45], v[72:73]
	v_fma_f64 v[100:101], v[58:59], s[8:9], v[30:31]
	v_add_f64 v[74:75], v[46:47], v[74:75]
	v_add_f64 v[80:81], v[44:45], v[80:81]
	v_add_f64 v[82:83], v[46:47], v[82:83]
	v_fma_f64 v[102:103], v[68:69], s[36:37], v[32:33]
	v_add_f64 v[44:45], v[44:45], v[50:51]
	v_add_f64 v[46:47], v[46:47], v[54:55]
	v_fma_f64 v[30:31], v[58:59], s[8:9], -v[30:31]
	v_fma_f64 v[50:51], v[58:59], s[20:21], v[96:97]
	v_fma_f64 v[54:55], v[68:69], s[38:39], v[98:99]
	v_add_f64 v[84:85], v[100:101], v[84:85]
	v_mul_f64 v[100:101], v[56:57], s[34:35]
	v_fma_f64 v[32:33], v[68:69], s[14:15], v[32:33]
	v_add_f64 v[52:53], v[102:103], v[52:53]
	v_mul_f64 v[102:103], v[8:9], s[24:25]
	v_add_f64 v[30:31], v[30:31], v[38:39]
	v_add_f64 v[38:39], v[50:51], v[86:87]
	;; [unrolled: 1-line block ×3, first 2 shown]
	v_fma_f64 v[54:55], v[58:59], s[20:21], -v[96:97]
	v_fma_f64 v[86:87], v[58:59], s[24:25], v[100:101]
	v_mul_f64 v[96:97], v[56:57], s[30:31]
	v_add_f64 v[32:33], v[32:33], v[70:71]
	v_fma_f64 v[70:71], v[68:69], s[26:27], v[98:99]
	v_fma_f64 v[94:95], v[68:69], s[28:29], v[102:103]
	v_fma_f64 v[98:99], v[58:59], s[24:25], -v[100:101]
	v_mul_f64 v[100:101], v[8:9], s[16:17]
	v_add_f64 v[54:55], v[54:55], v[72:73]
	v_add_f64 v[36:37], v[86:87], v[36:37]
	v_fma_f64 v[72:73], v[58:59], s[16:17], v[96:97]
	v_fma_f64 v[86:87], v[58:59], s[16:17], -v[96:97]
	v_mul_f64 v[8:9], v[8:9], s[0:1]
	v_add_f64 v[70:71], v[70:71], v[74:75]
	v_add_f64 v[40:41], v[94:95], v[40:41]
	v_fma_f64 v[74:75], v[68:69], s[18:19], v[100:101]
	v_mul_f64 v[56:57], v[56:57], s[22:23]
	v_fma_f64 v[94:95], v[68:69], s[30:31], v[100:101]
	v_add_f64 v[72:73], v[72:73], v[78:79]
	v_add_f64 v[78:79], v[12:13], -v[34:35]
	v_add_f64 v[12:13], v[12:13], v[34:35]
	v_add_f64 v[80:81], v[86:87], v[80:81]
	v_fma_f64 v[86:87], v[68:69], s[6:7], v[8:9]
	v_fma_f64 v[102:103], v[68:69], s[34:35], v[102:103]
	v_add_f64 v[74:75], v[74:75], v[88:89]
	v_fma_f64 v[34:35], v[58:59], s[0:1], v[56:57]
	v_add_f64 v[82:83], v[94:95], v[82:83]
	v_add_f64 v[88:89], v[10:11], v[48:49]
	v_mul_f64 v[94:95], v[78:79], s[18:19]
	v_add_f64 v[10:11], v[10:11], -v[48:49]
	v_mul_f64 v[48:49], v[12:13], s[16:17]
	v_fma_f64 v[56:57], v[58:59], s[0:1], -v[56:57]
	v_fma_f64 v[8:9], v[68:69], s[22:23], v[8:9]
	v_add_f64 v[58:59], v[86:87], v[92:93]
	v_mul_f64 v[68:69], v[78:79], s[34:35]
	v_mul_f64 v[86:87], v[12:13], s[24:25]
	v_add_f64 v[34:35], v[34:35], v[90:91]
	v_fma_f64 v[90:91], v[88:89], s[16:17], v[94:95]
	v_fma_f64 v[92:93], v[10:11], s[30:31], v[48:49]
	;; [unrolled: 1-line block ×3, first 2 shown]
	v_add_f64 v[44:45], v[56:57], v[44:45]
	v_add_f64 v[8:9], v[8:9], v[46:47]
	v_fma_f64 v[46:47], v[88:89], s[24:25], v[68:69]
	v_fma_f64 v[56:57], v[10:11], s[28:29], v[86:87]
	v_fma_f64 v[94:95], v[88:89], s[16:17], -v[94:95]
	v_add_f64 v[84:85], v[90:91], v[84:85]
	v_mul_f64 v[90:91], v[12:13], s[8:9]
	v_add_f64 v[32:33], v[48:49], v[32:33]
	v_mul_f64 v[48:49], v[78:79], s[36:37]
	v_add_f64 v[42:43], v[98:99], v[42:43]
	v_add_f64 v[38:39], v[46:47], v[38:39]
	;; [unrolled: 1-line block ×3, first 2 shown]
	v_fma_f64 v[50:51], v[88:89], s[24:25], -v[68:69]
	v_fma_f64 v[56:57], v[10:11], s[34:35], v[86:87]
	v_mul_f64 v[68:69], v[78:79], s[6:7]
	v_add_f64 v[76:77], v[102:103], v[76:77]
	v_add_f64 v[52:53], v[92:93], v[52:53]
	;; [unrolled: 1-line block ×3, first 2 shown]
	v_mul_f64 v[86:87], v[12:13], s[0:1]
	v_fma_f64 v[92:93], v[88:89], s[8:9], v[48:49]
	v_fma_f64 v[94:95], v[10:11], s[14:15], v[90:91]
	v_fma_f64 v[48:49], v[88:89], s[8:9], -v[48:49]
	v_fma_f64 v[90:91], v[10:11], s[36:37], v[90:91]
	v_add_f64 v[50:51], v[50:51], v[54:55]
	v_add_f64 v[54:55], v[56:57], v[70:71]
	v_fma_f64 v[56:57], v[88:89], s[0:1], v[68:69]
	v_fma_f64 v[70:71], v[10:11], s[22:23], v[86:87]
	v_mul_f64 v[12:13], v[12:13], s[20:21]
	v_add_f64 v[36:37], v[92:93], v[36:37]
	v_add_f64 v[42:43], v[48:49], v[42:43]
	;; [unrolled: 1-line block ×3, first 2 shown]
	v_mul_f64 v[76:77], v[78:79], s[26:27]
	v_add_f64 v[40:41], v[94:95], v[40:41]
	v_add_f64 v[56:57], v[56:57], v[72:73]
	v_add_f64 v[72:73], v[16:17], -v[28:29]
	v_add_f64 v[16:17], v[16:17], v[28:29]
	v_add_f64 v[70:71], v[70:71], v[74:75]
	v_fma_f64 v[28:29], v[88:89], s[0:1], -v[68:69]
	v_fma_f64 v[68:69], v[10:11], s[6:7], v[86:87]
	v_fma_f64 v[74:75], v[88:89], s[20:21], v[76:77]
	;; [unrolled: 1-line block ×3, first 2 shown]
	v_add_f64 v[86:87], v[14:15], v[26:27]
	v_add_f64 v[14:15], v[14:15], -v[26:27]
	v_mul_f64 v[26:27], v[72:73], s[26:27]
	v_mul_f64 v[90:91], v[16:17], s[20:21]
	v_add_f64 v[28:29], v[28:29], v[80:81]
	v_add_f64 v[68:69], v[68:69], v[82:83]
	v_fma_f64 v[76:77], v[88:89], s[20:21], -v[76:77]
	v_fma_f64 v[10:11], v[10:11], s[26:27], v[12:13]
	v_add_f64 v[12:13], v[74:75], v[34:35]
	v_add_f64 v[34:35], v[78:79], v[58:59]
	v_fma_f64 v[58:59], v[86:87], s[20:21], v[26:27]
	v_fma_f64 v[74:75], v[14:15], s[38:39], v[90:91]
	v_fma_f64 v[26:27], v[86:87], s[20:21], -v[26:27]
	v_fma_f64 v[78:79], v[14:15], s[26:27], v[90:91]
	v_mul_f64 v[80:81], v[72:73], s[30:31]
	v_mul_f64 v[82:83], v[16:17], s[16:17]
	v_add_f64 v[44:45], v[76:77], v[44:45]
	v_add_f64 v[8:9], v[10:11], v[8:9]
	;; [unrolled: 1-line block ×6, first 2 shown]
	v_fma_f64 v[32:33], v[86:87], s[16:17], v[80:81]
	v_fma_f64 v[58:59], v[14:15], s[18:19], v[82:83]
	v_mul_f64 v[74:75], v[72:73], s[6:7]
	v_mul_f64 v[76:77], v[16:17], s[0:1]
	v_fma_f64 v[78:79], v[86:87], s[16:17], -v[80:81]
	v_fma_f64 v[80:81], v[14:15], s[30:31], v[82:83]
	v_mul_f64 v[82:83], v[72:73], s[28:29]
	v_mul_f64 v[84:85], v[16:17], s[24:25]
	v_add_f64 v[32:33], v[32:33], v[38:39]
	v_add_f64 v[38:39], v[58:59], v[46:47]
	v_fma_f64 v[46:47], v[86:87], s[0:1], v[74:75]
	v_fma_f64 v[58:59], v[14:15], s[22:23], v[76:77]
	;; [unrolled: 1-line block ×3, first 2 shown]
	v_fma_f64 v[74:75], v[86:87], s[0:1], -v[74:75]
	v_fma_f64 v[88:89], v[86:87], s[24:25], v[82:83]
	v_fma_f64 v[90:91], v[14:15], s[34:35], v[84:85]
	v_mul_f64 v[16:17], v[16:17], s[8:9]
	v_add_f64 v[50:51], v[78:79], v[50:51]
	v_add_f64 v[36:37], v[46:47], v[36:37]
	;; [unrolled: 1-line block ×4, first 2 shown]
	v_add_f64 v[58:59], v[20:21], -v[24:25]
	v_add_f64 v[48:49], v[88:89], v[56:57]
	v_add_f64 v[56:57], v[90:91], v[70:71]
	;; [unrolled: 1-line block ×3, first 2 shown]
	v_mul_f64 v[20:21], v[72:73], s[36:37]
	v_add_f64 v[42:43], v[74:75], v[42:43]
	v_fma_f64 v[24:25], v[86:87], s[24:25], -v[82:83]
	v_add_f64 v[74:75], v[18:19], v[22:23]
	v_add_f64 v[76:77], v[18:19], -v[22:23]
	v_mul_f64 v[18:19], v[58:59], s[28:29]
	v_fma_f64 v[72:73], v[14:15], s[28:29], v[84:85]
	v_mul_f64 v[22:23], v[70:71], s[24:25]
	v_fma_f64 v[78:79], v[86:87], s[8:9], v[20:21]
	v_add_f64 v[54:55], v[80:81], v[54:55]
	v_fma_f64 v[80:81], v[14:15], s[14:15], v[16:17]
	v_add_f64 v[82:83], v[24:25], v[28:29]
	v_fma_f64 v[14:15], v[14:15], s[36:37], v[16:17]
	v_fma_f64 v[16:17], v[74:75], s[24:25], v[18:19]
	v_add_f64 v[68:69], v[72:73], v[68:69]
	v_fma_f64 v[24:25], v[76:77], s[34:35], v[22:23]
	v_fma_f64 v[20:21], v[86:87], s[8:9], -v[20:21]
	v_add_f64 v[72:73], v[78:79], v[12:13]
	v_mul_f64 v[12:13], v[58:59], s[22:23]
	v_mul_f64 v[28:29], v[70:71], s[0:1]
	v_add_f64 v[78:79], v[80:81], v[34:35]
	v_add_f64 v[80:81], v[14:15], v[8:9]
	;; [unrolled: 1-line block ×4, first 2 shown]
	v_fma_f64 v[14:15], v[74:75], s[24:25], -v[18:19]
	v_fma_f64 v[16:17], v[76:77], s[28:29], v[22:23]
	v_mul_f64 v[24:25], v[58:59], s[26:27]
	v_mul_f64 v[34:35], v[70:71], s[20:21]
	v_add_f64 v[44:45], v[20:21], v[44:45]
	v_fma_f64 v[18:19], v[74:75], s[0:1], v[12:13]
	v_fma_f64 v[20:21], v[76:77], s[6:7], v[28:29]
	v_fma_f64 v[22:23], v[74:75], s[0:1], -v[12:13]
	v_fma_f64 v[28:29], v[76:77], s[22:23], v[28:29]
	v_add_f64 v[12:13], v[14:15], v[26:27]
	v_add_f64 v[14:15], v[16:17], v[30:31]
	v_fma_f64 v[26:27], v[74:75], s[20:21], v[24:25]
	v_fma_f64 v[30:31], v[76:77], s[38:39], v[34:35]
	v_add_f64 v[16:17], v[18:19], v[32:33]
	v_add_f64 v[18:19], v[20:21], v[38:39]
	;; [unrolled: 1-line block ×4, first 2 shown]
	v_fma_f64 v[28:29], v[74:75], s[20:21], -v[24:25]
	v_fma_f64 v[32:33], v[76:77], s[26:27], v[34:35]
	v_mul_f64 v[34:35], v[58:59], s[36:37]
	v_mul_f64 v[38:39], v[70:71], s[8:9]
	v_add_f64 v[24:25], v[26:27], v[36:37]
	v_add_f64 v[26:27], v[30:31], v[40:41]
	v_mul_f64 v[36:37], v[58:59], s[18:19]
	v_mul_f64 v[40:41], v[70:71], s[16:17]
	v_add_f64 v[28:29], v[28:29], v[42:43]
	v_add_f64 v[30:31], v[32:33], v[46:47]
	v_fma_f64 v[32:33], v[74:75], s[8:9], v[34:35]
	v_fma_f64 v[42:43], v[76:77], s[14:15], v[38:39]
	v_fma_f64 v[46:47], v[74:75], s[8:9], -v[34:35]
	v_fma_f64 v[38:39], v[76:77], s[36:37], v[38:39]
	v_fma_f64 v[50:51], v[74:75], s[16:17], v[36:37]
	;; [unrolled: 1-line block ×3, first 2 shown]
	v_fma_f64 v[54:55], v[74:75], s[16:17], -v[36:37]
	v_fma_f64 v[58:59], v[76:77], s[18:19], v[40:41]
	v_add_f64 v[32:33], v[32:33], v[48:49]
	v_add_f64 v[34:35], v[42:43], v[56:57]
	v_lshrrev_b32_e32 v48, 4, v64
	v_mul_u32_u24_e32 v48, 0xb0, v48
	v_add_f64 v[40:41], v[50:51], v[72:73]
	v_add_f64 v[42:43], v[52:53], v[78:79]
	v_add_f64 v[36:37], v[46:47], v[82:83]
	v_add_f64 v[44:45], v[54:55], v[44:45]
	v_add_f64 v[46:47], v[58:59], v[80:81]
	v_or_b32_e32 v3, v48, v3
	v_add_f64 v[38:39], v[38:39], v[68:69]
	v_lshl_add_u32 v3, v3, 4, 0
	ds_write_b128 v3, v[4:7]
	ds_write_b128 v3, v[8:11] offset:256
	ds_write_b128 v3, v[16:19] offset:512
	;; [unrolled: 1-line block ×10, first 2 shown]
	s_waitcnt lgkmcnt(0)
	s_barrier
	s_and_saveexec_b64 s[38:39], vcc
	s_cbranch_execz .LBB0_27
; %bb.26:
	v_mul_u32_u24_e32 v3, 10, v64
	v_lshlrev_b32_e32 v3, 4, v3
	global_load_dwordx4 v[4:7], v3, s[12:13] offset:2848
	global_load_dwordx4 v[8:11], v3, s[12:13] offset:2864
	;; [unrolled: 1-line block ×10, first 2 shown]
	ds_read_b128 v[32:35], v2 offset:14080
	ds_read_b128 v[56:59], v65 offset:16896
	;; [unrolled: 1-line block ×3, first 2 shown]
	ds_read_b128 v[72:75], v1
	ds_read_b128 v[76:79], v0
	ds_read_b128 v[80:83], v65 offset:22528
	ds_read_b128 v[84:87], v65 offset:25344
	ds_read_b128 v[88:91], v67
	ds_read_b128 v[0:3], v65
	;; [unrolled: 1-line block ×3, first 2 shown]
	ds_read_b128 v[96:99], v65 offset:28160
	s_waitcnt vmcnt(9) lgkmcnt(10)
	v_mul_f64 v[36:37], v[6:7], v[34:35]
	s_waitcnt vmcnt(8) lgkmcnt(9)
	v_mul_f64 v[50:51], v[10:11], v[58:59]
	v_mul_f64 v[6:7], v[32:33], v[6:7]
	s_waitcnt vmcnt(7) lgkmcnt(7)
	v_mul_f64 v[64:65], v[14:15], v[74:75]
	s_waitcnt vmcnt(5) lgkmcnt(6)
	v_mul_f64 v[100:101], v[22:23], v[78:79]
	v_mul_f64 v[22:23], v[76:77], v[22:23]
	;; [unrolled: 1-line block ×4, first 2 shown]
	s_waitcnt vmcnt(1) lgkmcnt(1)
	v_mul_f64 v[115:116], v[48:49], v[94:95]
	s_waitcnt vmcnt(0) lgkmcnt(0)
	v_mul_f64 v[117:118], v[54:55], v[98:99]
	v_mul_f64 v[102:103], v[26:27], v[82:83]
	;; [unrolled: 1-line block ×7, first 2 shown]
	v_fma_f64 v[44:45], v[4:5], v[34:35], -v[6:7]
	v_fma_f64 v[34:35], v[8:9], v[56:57], v[50:51]
	v_fma_f64 v[48:49], v[12:13], v[72:73], v[64:65]
	;; [unrolled: 1-line block ×3, first 2 shown]
	v_fma_f64 v[56:57], v[20:21], v[78:79], -v[22:23]
	v_fma_f64 v[72:73], v[46:47], v[92:93], v[115:116]
	v_fma_f64 v[20:21], v[52:53], v[96:97], v[117:118]
	v_mul_f64 v[66:67], v[18:19], v[70:71]
	v_mul_f64 v[111:112], v[88:89], v[30:31]
	;; [unrolled: 1-line block ×3, first 2 shown]
	v_fma_f64 v[42:43], v[4:5], v[32:33], v[36:37]
	v_fma_f64 v[26:27], v[24:25], v[80:81], v[102:103]
	v_fma_f64 v[32:33], v[24:25], v[82:83], -v[105:106]
	v_fma_f64 v[64:65], v[28:29], v[88:89], v[107:108]
	v_fma_f64 v[22:23], v[38:39], v[84:85], v[109:110]
	v_fma_f64 v[76:77], v[46:47], v[94:95], -v[119:120]
	v_fma_f64 v[24:25], v[52:53], v[98:99], -v[121:122]
	v_add_f64 v[100:101], v[72:73], -v[20:21]
	v_fma_f64 v[30:31], v[16:17], v[68:69], v[66:67]
	v_fma_f64 v[66:67], v[28:29], v[90:91], -v[111:112]
	v_fma_f64 v[28:29], v[38:39], v[86:87], -v[113:114]
	v_mul_f64 v[18:19], v[68:69], v[18:19]
	v_add_f64 v[102:103], v[64:65], -v[22:23]
	v_fma_f64 v[40:41], v[8:9], v[58:59], -v[10:11]
	v_add_f64 v[92:93], v[76:77], -v[24:25]
	v_add_f64 v[78:79], v[76:77], v[24:25]
	v_mul_f64 v[4:5], v[100:101], s[28:29]
	v_fma_f64 v[50:51], v[12:13], v[74:75], -v[14:15]
	v_add_f64 v[96:97], v[54:55], -v[26:27]
	v_add_f64 v[74:75], v[66:67], v[28:29]
	v_add_f64 v[88:89], v[66:67], -v[28:29]
	v_add_f64 v[84:85], v[72:73], v[20:21]
	v_mul_f64 v[6:7], v[92:93], s[28:29]
	v_mul_f64 v[8:9], v[102:103], s[22:23]
	v_fma_f64 v[125:126], v[78:79], s[24:25], v[4:5]
	v_fma_f64 v[4:5], v[78:79], s[24:25], -v[4:5]
	v_fma_f64 v[36:37], v[16:17], v[70:71], -v[18:19]
	v_add_f64 v[86:87], v[48:49], -v[30:31]
	v_add_f64 v[52:53], v[56:57], v[32:33]
	v_add_f64 v[90:91], v[56:57], -v[32:33]
	v_add_f64 v[82:83], v[64:65], v[22:23]
	v_mul_f64 v[10:11], v[88:89], s[22:23]
	v_mul_f64 v[12:13], v[96:97], s[26:27]
	v_fma_f64 v[127:128], v[84:85], s[24:25], -v[6:7]
	v_fma_f64 v[129:130], v[74:75], s[0:1], v[8:9]
	v_fma_f64 v[6:7], v[84:85], s[24:25], v[6:7]
	v_fma_f64 v[8:9], v[74:75], s[0:1], -v[8:9]
	v_add_f64 v[4:5], v[2:3], v[4:5]
	v_add_f64 v[70:71], v[42:43], -v[34:35]
	v_add_f64 v[46:47], v[50:51], v[36:37]
	v_add_f64 v[98:99], v[50:51], -v[36:37]
	v_add_f64 v[80:81], v[54:55], v[26:27]
	v_mul_f64 v[14:15], v[90:91], s[26:27]
	v_mul_f64 v[18:19], v[86:87], s[36:37]
	;; [unrolled: 1-line block ×4, first 2 shown]
	v_fma_f64 v[131:132], v[82:83], s[0:1], -v[10:11]
	v_fma_f64 v[10:11], v[82:83], s[0:1], v[10:11]
	v_fma_f64 v[133:134], v[52:53], s[20:21], v[12:13]
	v_fma_f64 v[12:13], v[52:53], s[20:21], -v[12:13]
	v_add_f64 v[125:126], v[2:3], v[125:126]
	v_add_f64 v[127:128], v[0:1], v[127:128]
	v_add_f64 v[6:7], v[0:1], v[6:7]
	v_add_f64 v[4:5], v[8:9], v[4:5]
	v_add_f64 v[38:39], v[44:45], v[40:41]
	v_add_f64 v[94:95], v[44:45], -v[40:41]
	v_add_f64 v[68:69], v[48:49], v[30:31]
	v_mul_f64 v[16:17], v[70:71], s[18:19]
	v_mul_f64 v[107:108], v[98:99], s[36:37]
	;; [unrolled: 1-line block ×4, first 2 shown]
	v_fma_f64 v[135:136], v[80:81], s[20:21], -v[14:15]
	v_fma_f64 v[14:15], v[80:81], s[20:21], v[14:15]
	v_fma_f64 v[137:138], v[46:47], s[8:9], v[18:19]
	v_fma_f64 v[18:19], v[46:47], s[8:9], -v[18:19]
	v_fma_f64 v[145:146], v[78:79], s[20:21], v[111:112]
	v_add_f64 v[125:126], v[129:130], v[125:126]
	v_add_f64 v[127:128], v[131:132], v[127:128]
	;; [unrolled: 1-line block ×3, first 2 shown]
	v_fma_f64 v[8:9], v[84:85], s[20:21], -v[113:114]
	v_add_f64 v[4:5], v[12:13], v[4:5]
	v_add_f64 v[58:59], v[42:43], v[34:35]
	v_mul_f64 v[105:106], v[94:95], s[18:19]
	v_mul_f64 v[117:118], v[96:97], s[6:7]
	;; [unrolled: 1-line block ×3, first 2 shown]
	v_fma_f64 v[139:140], v[68:69], s[8:9], -v[107:108]
	v_fma_f64 v[107:108], v[68:69], s[8:9], v[107:108]
	v_fma_f64 v[141:142], v[38:39], s[16:17], v[16:17]
	;; [unrolled: 1-line block ×3, first 2 shown]
	v_fma_f64 v[16:17], v[38:39], s[16:17], -v[16:17]
	v_fma_f64 v[10:11], v[82:83], s[16:17], -v[115:116]
	v_add_f64 v[125:126], v[133:134], v[125:126]
	v_add_f64 v[127:128], v[135:136], v[127:128]
	;; [unrolled: 1-line block ×3, first 2 shown]
	v_fma_f64 v[12:13], v[78:79], s[20:21], -v[111:112]
	v_fma_f64 v[14:15], v[84:85], s[20:21], v[113:114]
	v_add_f64 v[111:112], v[2:3], v[145:146]
	v_add_f64 v[8:9], v[0:1], v[8:9]
	;; [unrolled: 1-line block ×3, first 2 shown]
	v_mul_f64 v[121:122], v[86:87], s[28:29]
	v_mul_f64 v[123:124], v[98:99], s[28:29]
	v_fma_f64 v[143:144], v[58:59], s[16:17], -v[105:106]
	v_fma_f64 v[105:106], v[58:59], s[16:17], v[105:106]
	v_fma_f64 v[129:130], v[52:53], s[0:1], v[117:118]
	v_fma_f64 v[131:132], v[80:81], s[0:1], -v[119:120]
	v_add_f64 v[113:114], v[137:138], v[125:126]
	v_add_f64 v[125:126], v[139:140], v[127:128]
	;; [unrolled: 1-line block ×3, first 2 shown]
	v_fma_f64 v[109:110], v[74:75], s[16:17], -v[109:110]
	v_add_f64 v[12:13], v[2:3], v[12:13]
	v_add_f64 v[111:112], v[147:148], v[111:112]
	;; [unrolled: 1-line block ×4, first 2 shown]
	v_fma_f64 v[16:17], v[82:83], s[16:17], v[115:116]
	v_add_f64 v[14:15], v[0:1], v[14:15]
	v_add_f64 v[6:7], v[141:142], v[113:114]
	v_add_f64 v[8:9], v[105:106], v[107:108]
	v_fma_f64 v[107:108], v[46:47], s[24:25], v[121:122]
	v_add_f64 v[18:19], v[129:130], v[111:112]
	v_add_f64 v[105:106], v[131:132], v[127:128]
	v_fma_f64 v[111:112], v[68:69], s[24:25], -v[123:124]
	v_add_f64 v[12:13], v[109:110], v[12:13]
	v_mul_f64 v[109:110], v[70:71], s[36:37]
	v_fma_f64 v[113:114], v[52:53], s[0:1], -v[117:118]
	v_add_f64 v[14:15], v[16:17], v[14:15]
	v_mul_f64 v[16:17], v[100:101], s[18:19]
	v_fma_f64 v[115:116], v[80:81], s[0:1], v[119:120]
	v_add_f64 v[18:19], v[107:108], v[18:19]
	v_mul_f64 v[107:108], v[94:95], s[36:37]
	v_add_f64 v[105:106], v[111:112], v[105:106]
	v_fma_f64 v[111:112], v[38:39], s[8:9], v[109:110]
	v_add_f64 v[113:114], v[113:114], v[12:13]
	v_mul_f64 v[117:118], v[102:103], s[34:35]
	v_fma_f64 v[12:13], v[78:79], s[16:17], v[16:17]
	v_mul_f64 v[119:120], v[92:93], s[18:19]
	v_add_f64 v[4:5], v[143:144], v[125:126]
	v_add_f64 v[115:116], v[115:116], v[14:15]
	v_fma_f64 v[125:126], v[58:59], s[8:9], -v[107:108]
	v_fma_f64 v[121:122], v[46:47], s[24:25], -v[121:122]
	v_add_f64 v[14:15], v[111:112], v[18:19]
	v_mul_f64 v[111:112], v[96:97], s[36:37]
	v_fma_f64 v[18:19], v[74:75], s[24:25], v[117:118]
	v_add_f64 v[127:128], v[2:3], v[12:13]
	v_fma_f64 v[129:130], v[84:85], s[16:17], -v[119:120]
	v_mul_f64 v[131:132], v[88:89], s[34:35]
	v_fma_f64 v[123:124], v[68:69], s[24:25], v[123:124]
	v_add_f64 v[12:13], v[125:126], v[105:106]
	v_fma_f64 v[105:106], v[38:39], s[8:9], -v[109:110]
	v_add_f64 v[109:110], v[121:122], v[113:114]
	v_fma_f64 v[113:114], v[52:53], s[8:9], v[111:112]
	v_add_f64 v[121:122], v[18:19], v[127:128]
	v_add_f64 v[127:128], v[0:1], v[129:130]
	v_fma_f64 v[129:130], v[82:83], s[24:25], -v[131:132]
	v_mul_f64 v[133:134], v[90:91], s[36:37]
	v_mul_f64 v[125:126], v[86:87], s[6:7]
	v_fma_f64 v[107:108], v[58:59], s[8:9], v[107:108]
	v_add_f64 v[115:116], v[123:124], v[115:116]
	v_add_f64 v[18:19], v[105:106], v[109:110]
	;; [unrolled: 1-line block ×3, first 2 shown]
	v_fma_f64 v[16:17], v[78:79], s[16:17], -v[16:17]
	v_add_f64 v[113:114], v[129:130], v[127:128]
	v_fma_f64 v[119:120], v[84:85], s[16:17], v[119:120]
	v_fma_f64 v[121:122], v[80:81], s[8:9], -v[133:134]
	v_mul_f64 v[123:124], v[98:99], s[6:7]
	v_fma_f64 v[109:110], v[46:47], s[0:1], v[125:126]
	v_mul_f64 v[127:128], v[70:71], s[26:27]
	v_fma_f64 v[117:118], v[74:75], s[24:25], -v[117:118]
	v_add_f64 v[129:130], v[2:3], v[16:17]
	v_add_f64 v[16:17], v[107:108], v[115:116]
	v_fma_f64 v[107:108], v[82:83], s[24:25], v[131:132]
	v_add_f64 v[115:116], v[0:1], v[119:120]
	v_add_f64 v[113:114], v[121:122], v[113:114]
	v_fma_f64 v[119:120], v[68:69], s[0:1], -v[123:124]
	v_add_f64 v[105:106], v[109:110], v[105:106]
	v_fma_f64 v[109:110], v[38:39], s[20:21], v[127:128]
	v_add_f64 v[117:118], v[117:118], v[129:130]
	v_mul_f64 v[121:122], v[100:101], s[14:15]
	v_fma_f64 v[111:112], v[52:53], s[8:9], -v[111:112]
	v_add_f64 v[115:116], v[107:108], v[115:116]
	v_fma_f64 v[129:130], v[80:81], s[8:9], v[133:134]
	v_add_f64 v[113:114], v[119:120], v[113:114]
	v_mul_f64 v[119:120], v[92:93], s[14:15]
	v_add_f64 v[107:108], v[109:110], v[105:106]
	v_mul_f64 v[105:106], v[94:95], s[26:27]
	v_fma_f64 v[109:110], v[78:79], s[8:9], v[121:122]
	v_mul_f64 v[131:132], v[102:103], s[26:27]
	v_add_f64 v[111:112], v[111:112], v[117:118]
	v_add_f64 v[115:116], v[129:130], v[115:116]
	v_fma_f64 v[117:118], v[46:47], s[0:1], -v[125:126]
	v_fma_f64 v[125:126], v[84:85], s[8:9], -v[119:120]
	v_mul_f64 v[129:130], v[88:89], s[26:27]
	v_add_f64 v[76:77], v[2:3], v[76:77]
	v_fma_f64 v[123:124], v[68:69], s[0:1], v[123:124]
	v_add_f64 v[109:110], v[2:3], v[109:110]
	v_fma_f64 v[133:134], v[74:75], s[20:21], v[131:132]
	v_mul_f64 v[135:136], v[96:97], s[34:35]
	v_fma_f64 v[137:138], v[58:59], s[20:21], -v[105:106]
	v_add_f64 v[111:112], v[117:118], v[111:112]
	v_add_f64 v[117:118], v[0:1], v[125:126]
	v_fma_f64 v[125:126], v[82:83], s[20:21], -v[129:130]
	v_mul_f64 v[139:140], v[90:91], s[34:35]
	v_add_f64 v[72:73], v[72:73], v[0:1]
	v_add_f64 v[76:77], v[66:67], v[76:77]
	;; [unrolled: 1-line block ×4, first 2 shown]
	v_fma_f64 v[123:124], v[52:53], s[24:25], v[135:136]
	v_mul_f64 v[133:134], v[86:87], s[30:31]
	v_fma_f64 v[141:142], v[58:59], s[20:21], v[105:106]
	v_add_f64 v[117:118], v[125:126], v[117:118]
	v_fma_f64 v[125:126], v[80:81], s[24:25], -v[139:140]
	v_add_f64 v[105:106], v[137:138], v[113:114]
	v_mul_f64 v[113:114], v[98:99], s[30:31]
	v_add_f64 v[64:65], v[64:65], v[72:73]
	v_add_f64 v[56:57], v[56:57], v[76:77]
	v_fma_f64 v[127:128], v[38:39], s[20:21], -v[127:128]
	v_add_f64 v[123:124], v[123:124], v[109:110]
	v_fma_f64 v[137:138], v[46:47], s[16:17], v[133:134]
	v_add_f64 v[109:110], v[141:142], v[115:116]
	v_fma_f64 v[115:116], v[78:79], s[8:9], -v[121:122]
	v_add_f64 v[117:118], v[125:126], v[117:118]
	v_fma_f64 v[119:120], v[84:85], s[8:9], v[119:120]
	v_fma_f64 v[121:122], v[68:69], s[16:17], -v[113:114]
	v_mul_f64 v[125:126], v[100:101], s[6:7]
	v_mul_f64 v[76:77], v[92:93], s[6:7]
	v_add_f64 v[92:93], v[54:55], v[64:65]
	v_add_f64 v[50:51], v[50:51], v[56:57]
	;; [unrolled: 1-line block ×4, first 2 shown]
	v_mul_f64 v[123:124], v[70:71], s[22:23]
	v_fma_f64 v[127:128], v[74:75], s[20:21], -v[131:132]
	v_add_f64 v[115:116], v[2:3], v[115:116]
	v_fma_f64 v[129:130], v[82:83], s[20:21], v[129:130]
	v_add_f64 v[119:120], v[0:1], v[119:120]
	v_add_f64 v[117:118], v[121:122], v[117:118]
	v_fma_f64 v[121:122], v[78:79], s[0:1], v[125:126]
	v_mul_f64 v[131:132], v[102:103], s[14:15]
	v_add_f64 v[48:49], v[48:49], v[92:93]
	v_fma_f64 v[78:79], v[78:79], s[0:1], -v[125:126]
	v_add_f64 v[44:45], v[44:45], v[50:51]
	v_fma_f64 v[102:103], v[38:39], s[0:1], v[123:124]
	v_mul_f64 v[137:138], v[94:95], s[22:23]
	v_add_f64 v[115:116], v[127:128], v[115:116]
	v_fma_f64 v[127:128], v[52:53], s[24:25], -v[135:136]
	v_add_f64 v[119:120], v[129:130], v[119:120]
	v_fma_f64 v[129:130], v[80:81], s[24:25], v[139:140]
	v_add_f64 v[121:122], v[2:3], v[121:122]
	v_fma_f64 v[135:136], v[74:75], s[8:9], v[131:132]
	v_mul_f64 v[96:97], v[96:97], s[18:19]
	v_add_f64 v[42:43], v[42:43], v[48:49]
	v_fma_f64 v[48:49], v[74:75], s[8:9], -v[131:132]
	v_add_f64 v[2:3], v[2:3], v[78:79]
	v_add_f64 v[40:41], v[40:41], v[44:45]
	v_add_f64 v[102:103], v[102:103], v[100:101]
	v_fma_f64 v[100:101], v[58:59], s[0:1], -v[137:138]
	v_add_f64 v[115:116], v[127:128], v[115:116]
	v_fma_f64 v[127:128], v[46:47], s[16:17], -v[133:134]
	v_add_f64 v[119:120], v[129:130], v[119:120]
	v_fma_f64 v[113:114], v[68:69], s[16:17], v[113:114]
	v_add_f64 v[121:122], v[135:136], v[121:122]
	v_fma_f64 v[129:130], v[52:53], s[16:17], v[96:97]
	v_mul_f64 v[86:87], v[86:87], s[26:27]
	v_mul_f64 v[56:57], v[88:89], s[14:15]
	v_fma_f64 v[88:89], v[84:85], s[0:1], -v[76:77]
	v_fma_f64 v[76:77], v[84:85], s[0:1], v[76:77]
	v_add_f64 v[34:35], v[34:35], v[42:43]
	v_fma_f64 v[42:43], v[52:53], s[16:17], -v[96:97]
	v_add_f64 v[2:3], v[48:49], v[2:3]
	v_add_f64 v[36:37], v[36:37], v[40:41]
	;; [unrolled: 1-line block ×4, first 2 shown]
	v_fma_f64 v[117:118], v[38:39], s[0:1], -v[123:124]
	v_add_f64 v[113:114], v[113:114], v[119:120]
	v_add_f64 v[119:120], v[129:130], v[121:122]
	v_fma_f64 v[121:122], v[46:47], s[20:21], v[86:87]
	v_mul_f64 v[70:71], v[70:71], s[28:29]
	v_mul_f64 v[90:91], v[90:91], s[18:19]
	v_fma_f64 v[50:51], v[82:83], s[8:9], -v[56:57]
	v_add_f64 v[84:85], v[0:1], v[88:89]
	v_fma_f64 v[56:57], v[82:83], s[8:9], v[56:57]
	v_add_f64 v[0:1], v[0:1], v[76:77]
	v_add_f64 v[30:31], v[30:31], v[34:35]
	v_fma_f64 v[34:35], v[46:47], s[20:21], -v[86:87]
	v_add_f64 v[2:3], v[42:43], v[2:3]
	v_add_f64 v[32:33], v[32:33], v[36:37]
	;; [unrolled: 1-line block ×4, first 2 shown]
	v_fma_f64 v[115:116], v[38:39], s[24:25], v[70:71]
	v_mul_f64 v[92:93], v[98:99], s[26:27]
	v_fma_f64 v[48:49], v[80:81], s[16:17], v[90:91]
	v_add_f64 v[0:1], v[56:57], v[0:1]
	v_add_f64 v[26:27], v[26:27], v[30:31]
	v_fma_f64 v[30:31], v[38:39], s[24:25], -v[70:71]
	v_add_f64 v[2:3], v[34:35], v[2:3]
	v_add_f64 v[28:29], v[28:29], v[32:33]
	;; [unrolled: 1-line block ×3, first 2 shown]
	v_mul_f64 v[72:73], v[94:95], s[28:29]
	v_fma_f64 v[42:43], v[68:69], s[20:21], v[92:93]
	v_add_f64 v[0:1], v[48:49], v[0:1]
	v_add_f64 v[26:27], v[22:23], v[26:27]
	v_fma_f64 v[123:124], v[58:59], s[0:1], v[137:138]
	v_mul_lo_u32 v117, s5, v62
	v_mul_lo_u32 v118, s4, v63
	v_mad_u64_u32 v[62:63], s[4:5], s4, v62, 0
	v_mad_u64_u32 v[32:33], s[0:1], s2, v104, 0
	v_add3_u32 v63, v63, v118, v117
	v_add_f64 v[2:3], v[30:31], v[2:3]
	v_mov_b32_e32 v22, v33
	v_mad_u64_u32 v[30:31], s[0:1], s3, v104, v[22:23]
	v_add_f64 v[22:23], v[24:25], v[28:29]
	v_lshlrev_b64 v[24:25], 4, v[62:63]
	v_fma_f64 v[34:35], v[58:59], s[24:25], v[72:73]
	v_add_f64 v[0:1], v[42:43], v[0:1]
	v_add_f64 v[20:21], v[20:21], v[26:27]
	v_mov_b32_e32 v26, s11
	v_add_co_u32_e32 v27, vcc, s10, v24
	v_addc_co_u32_e32 v26, vcc, v26, v25, vcc
	v_lshlrev_b64 v[24:25], 4, v[60:61]
	v_mov_b32_e32 v33, v30
	v_add_co_u32_e32 v30, vcc, v27, v24
	v_add_u32_e32 v28, 0xb0, v104
	v_addc_co_u32_e32 v31, vcc, v26, v25, vcc
	v_mad_u64_u32 v[26:27], s[0:1], s2, v28, 0
	v_add_f64 v[0:1], v[34:35], v[0:1]
	v_lshlrev_b64 v[24:25], 4, v[32:33]
	v_mad_u64_u32 v[27:28], s[0:1], s3, v28, v[27:28]
	v_add_co_u32_e32 v24, vcc, v30, v24
	v_addc_co_u32_e32 v25, vcc, v31, v25, vcc
	v_add_u32_e32 v32, 0x160, v104
	v_mad_u64_u32 v[28:29], s[0:1], s2, v32, 0
	global_store_dwordx4 v[24:25], v[20:23], off
	v_add_f64 v[64:65], v[123:124], v[113:114]
	v_lshlrev_b64 v[20:21], 4, v[26:27]
	v_mov_b32_e32 v22, v29
	v_add_co_u32_e32 v20, vcc, v30, v20
	v_addc_co_u32_e32 v21, vcc, v31, v21, vcc
	global_store_dwordx4 v[20:21], v[0:3], off
	v_add_u32_e32 v20, 0x210, v104
	v_mad_u64_u32 v[22:23], s[0:1], s3, v32, v[22:23]
	v_mad_u64_u32 v[2:3], s[0:1], s2, v20, 0
	v_mov_b32_e32 v29, v22
	v_add_u32_e32 v23, 0x2c0, v104
	v_mad_u64_u32 v[20:21], s[0:1], s3, v20, v[3:4]
	v_lshlrev_b64 v[0:1], 4, v[28:29]
	v_mad_u64_u32 v[21:22], s[0:1], s2, v23, 0
	v_add_co_u32_e32 v0, vcc, v30, v0
	v_addc_co_u32_e32 v1, vcc, v31, v1, vcc
	v_mov_b32_e32 v3, v20
	global_store_dwordx4 v[0:1], v[64:67], off
	v_lshlrev_b64 v[0:1], 4, v[2:3]
	v_mov_b32_e32 v2, v22
	v_mad_u64_u32 v[2:3], s[0:1], s3, v23, v[2:3]
	v_add_u32_e32 v20, 0x370, v104
	v_add_co_u32_e32 v0, vcc, v30, v0
	v_mov_b32_e32 v22, v2
	v_mad_u64_u32 v[2:3], s[0:1], s2, v20, 0
	v_addc_co_u32_e32 v1, vcc, v31, v1, vcc
	global_store_dwordx4 v[0:1], v[109:112], off
	v_lshlrev_b64 v[0:1], 4, v[21:22]
	v_mad_u64_u32 v[20:21], s[0:1], s3, v20, v[3:4]
	v_add_u32_e32 v23, 0x420, v104
	v_mad_u64_u32 v[21:22], s[0:1], s2, v23, 0
	v_add_co_u32_e32 v0, vcc, v30, v0
	v_addc_co_u32_e32 v1, vcc, v31, v1, vcc
	v_mov_b32_e32 v3, v20
	global_store_dwordx4 v[0:1], v[16:19], off
	v_lshlrev_b64 v[0:1], 4, v[2:3]
	v_mov_b32_e32 v2, v22
	v_mad_u64_u32 v[2:3], s[0:1], s3, v23, v[2:3]
	v_add_co_u32_e32 v0, vcc, v30, v0
	v_addc_co_u32_e32 v1, vcc, v31, v1, vcc
	global_store_dwordx4 v[0:1], v[8:11], off
	v_mov_b32_e32 v22, v2
	v_add_u32_e32 v8, 0x4d0, v104
	v_mad_u64_u32 v[2:3], s[0:1], s2, v8, 0
	v_fma_f64 v[44:45], v[80:81], s[16:17], -v[90:91]
	v_add_f64 v[50:51], v[50:51], v[84:85]
	v_mad_u64_u32 v[8:9], s[0:1], s3, v8, v[3:4]
	v_add_u32_e32 v11, 0x580, v104
	v_lshlrev_b64 v[0:1], 4, v[21:22]
	v_mad_u64_u32 v[9:10], s[0:1], s2, v11, 0
	v_add_co_u32_e32 v0, vcc, v30, v0
	v_addc_co_u32_e32 v1, vcc, v31, v1, vcc
	v_mov_b32_e32 v3, v8
	v_fma_f64 v[40:41], v[68:69], s[20:21], -v[92:93]
	v_add_f64 v[44:45], v[44:45], v[50:51]
	global_store_dwordx4 v[0:1], v[4:7], off
	v_lshlrev_b64 v[0:1], 4, v[2:3]
	v_mov_b32_e32 v2, v10
	v_mad_u64_u32 v[2:3], s[0:1], s3, v11, v[2:3]
	v_add_u32_e32 v4, 0x630, v104
	v_fma_f64 v[36:37], v[58:59], s[24:25], -v[72:73]
	v_mov_b32_e32 v10, v2
	v_mad_u64_u32 v[2:3], s[0:1], s2, v4, 0
	v_add_f64 v[40:41], v[40:41], v[44:45]
	v_add_co_u32_e32 v0, vcc, v30, v0
	v_addc_co_u32_e32 v1, vcc, v31, v1, vcc
	v_mad_u64_u32 v[3:4], s[0:1], s3, v4, v[3:4]
	v_add_u32_e32 v6, 0x6e0, v104
	global_store_dwordx4 v[0:1], v[12:15], off
	v_lshlrev_b64 v[0:1], 4, v[9:10]
	v_mad_u64_u32 v[4:5], s[0:1], s2, v6, 0
	v_add_co_u32_e32 v0, vcc, v30, v0
	v_addc_co_u32_e32 v1, vcc, v31, v1, vcc
	global_store_dwordx4 v[0:1], v[105:108], off
	v_lshlrev_b64 v[0:1], 4, v[2:3]
	v_mov_b32_e32 v2, v5
	v_mad_u64_u32 v[2:3], s[0:1], s3, v6, v[2:3]
	v_add_f64 v[52:53], v[36:37], v[40:41]
	v_add_co_u32_e32 v0, vcc, v30, v0
	v_addc_co_u32_e32 v1, vcc, v31, v1, vcc
	v_mov_b32_e32 v5, v2
	global_store_dwordx4 v[0:1], v[100:103], off
	v_lshlrev_b64 v[0:1], 4, v[4:5]
	v_add_co_u32_e32 v0, vcc, v30, v0
	v_addc_co_u32_e32 v1, vcc, v31, v1, vcc
	global_store_dwordx4 v[0:1], v[52:55], off
.LBB0_27:
	s_endpgm
	.section	.rodata,"a",@progbits
	.p2align	6, 0x0
	.amdhsa_kernel fft_rtc_back_len1936_factors_2_2_4_11_11_wgs_176_tpt_176_dp_op_CI_CI_sbrr_dirReg
		.amdhsa_group_segment_fixed_size 0
		.amdhsa_private_segment_fixed_size 0
		.amdhsa_kernarg_size 104
		.amdhsa_user_sgpr_count 6
		.amdhsa_user_sgpr_private_segment_buffer 1
		.amdhsa_user_sgpr_dispatch_ptr 0
		.amdhsa_user_sgpr_queue_ptr 0
		.amdhsa_user_sgpr_kernarg_segment_ptr 1
		.amdhsa_user_sgpr_dispatch_id 0
		.amdhsa_user_sgpr_flat_scratch_init 0
		.amdhsa_user_sgpr_private_segment_size 0
		.amdhsa_uses_dynamic_stack 0
		.amdhsa_system_sgpr_private_segment_wavefront_offset 0
		.amdhsa_system_sgpr_workgroup_id_x 1
		.amdhsa_system_sgpr_workgroup_id_y 0
		.amdhsa_system_sgpr_workgroup_id_z 0
		.amdhsa_system_sgpr_workgroup_info 0
		.amdhsa_system_vgpr_workitem_id 0
		.amdhsa_next_free_vgpr 149
		.amdhsa_next_free_sgpr 40
		.amdhsa_reserve_vcc 1
		.amdhsa_reserve_flat_scratch 0
		.amdhsa_float_round_mode_32 0
		.amdhsa_float_round_mode_16_64 0
		.amdhsa_float_denorm_mode_32 3
		.amdhsa_float_denorm_mode_16_64 3
		.amdhsa_dx10_clamp 1
		.amdhsa_ieee_mode 1
		.amdhsa_fp16_overflow 0
		.amdhsa_exception_fp_ieee_invalid_op 0
		.amdhsa_exception_fp_denorm_src 0
		.amdhsa_exception_fp_ieee_div_zero 0
		.amdhsa_exception_fp_ieee_overflow 0
		.amdhsa_exception_fp_ieee_underflow 0
		.amdhsa_exception_fp_ieee_inexact 0
		.amdhsa_exception_int_div_zero 0
	.end_amdhsa_kernel
	.text
.Lfunc_end0:
	.size	fft_rtc_back_len1936_factors_2_2_4_11_11_wgs_176_tpt_176_dp_op_CI_CI_sbrr_dirReg, .Lfunc_end0-fft_rtc_back_len1936_factors_2_2_4_11_11_wgs_176_tpt_176_dp_op_CI_CI_sbrr_dirReg
                                        ; -- End function
	.section	.AMDGPU.csdata,"",@progbits
; Kernel info:
; codeLenInByte = 11068
; NumSgprs: 44
; NumVgprs: 149
; ScratchSize: 0
; MemoryBound: 1
; FloatMode: 240
; IeeeMode: 1
; LDSByteSize: 0 bytes/workgroup (compile time only)
; SGPRBlocks: 5
; VGPRBlocks: 37
; NumSGPRsForWavesPerEU: 44
; NumVGPRsForWavesPerEU: 149
; Occupancy: 1
; WaveLimiterHint : 1
; COMPUTE_PGM_RSRC2:SCRATCH_EN: 0
; COMPUTE_PGM_RSRC2:USER_SGPR: 6
; COMPUTE_PGM_RSRC2:TRAP_HANDLER: 0
; COMPUTE_PGM_RSRC2:TGID_X_EN: 1
; COMPUTE_PGM_RSRC2:TGID_Y_EN: 0
; COMPUTE_PGM_RSRC2:TGID_Z_EN: 0
; COMPUTE_PGM_RSRC2:TIDIG_COMP_CNT: 0
	.type	__hip_cuid_4ccaf939b8969ea9,@object ; @__hip_cuid_4ccaf939b8969ea9
	.section	.bss,"aw",@nobits
	.globl	__hip_cuid_4ccaf939b8969ea9
__hip_cuid_4ccaf939b8969ea9:
	.byte	0                               ; 0x0
	.size	__hip_cuid_4ccaf939b8969ea9, 1

	.ident	"AMD clang version 19.0.0git (https://github.com/RadeonOpenCompute/llvm-project roc-6.4.0 25133 c7fe45cf4b819c5991fe208aaa96edf142730f1d)"
	.section	".note.GNU-stack","",@progbits
	.addrsig
	.addrsig_sym __hip_cuid_4ccaf939b8969ea9
	.amdgpu_metadata
---
amdhsa.kernels:
  - .args:
      - .actual_access:  read_only
        .address_space:  global
        .offset:         0
        .size:           8
        .value_kind:     global_buffer
      - .offset:         8
        .size:           8
        .value_kind:     by_value
      - .actual_access:  read_only
        .address_space:  global
        .offset:         16
        .size:           8
        .value_kind:     global_buffer
      - .actual_access:  read_only
        .address_space:  global
        .offset:         24
        .size:           8
        .value_kind:     global_buffer
      - .actual_access:  read_only
        .address_space:  global
        .offset:         32
        .size:           8
        .value_kind:     global_buffer
      - .offset:         40
        .size:           8
        .value_kind:     by_value
      - .actual_access:  read_only
        .address_space:  global
        .offset:         48
        .size:           8
        .value_kind:     global_buffer
      - .actual_access:  read_only
        .address_space:  global
        .offset:         56
        .size:           8
        .value_kind:     global_buffer
      - .offset:         64
        .size:           4
        .value_kind:     by_value
      - .actual_access:  read_only
        .address_space:  global
        .offset:         72
        .size:           8
        .value_kind:     global_buffer
      - .actual_access:  read_only
        .address_space:  global
        .offset:         80
        .size:           8
        .value_kind:     global_buffer
      - .actual_access:  read_only
        .address_space:  global
        .offset:         88
        .size:           8
        .value_kind:     global_buffer
      - .actual_access:  write_only
        .address_space:  global
        .offset:         96
        .size:           8
        .value_kind:     global_buffer
    .group_segment_fixed_size: 0
    .kernarg_segment_align: 8
    .kernarg_segment_size: 104
    .language:       OpenCL C
    .language_version:
      - 2
      - 0
    .max_flat_workgroup_size: 176
    .name:           fft_rtc_back_len1936_factors_2_2_4_11_11_wgs_176_tpt_176_dp_op_CI_CI_sbrr_dirReg
    .private_segment_fixed_size: 0
    .sgpr_count:     44
    .sgpr_spill_count: 0
    .symbol:         fft_rtc_back_len1936_factors_2_2_4_11_11_wgs_176_tpt_176_dp_op_CI_CI_sbrr_dirReg.kd
    .uniform_work_group_size: 1
    .uses_dynamic_stack: false
    .vgpr_count:     149
    .vgpr_spill_count: 0
    .wavefront_size: 64
amdhsa.target:   amdgcn-amd-amdhsa--gfx906
amdhsa.version:
  - 1
  - 2
...

	.end_amdgpu_metadata
